;; amdgpu-corpus repo=ROCm/rocFFT kind=compiled arch=gfx1030 opt=O3
	.text
	.amdgcn_target "amdgcn-amd-amdhsa--gfx1030"
	.amdhsa_code_object_version 6
	.protected	fft_rtc_back_len121_factors_11_11_wgs_121_tpt_11_half_op_CI_CI_sbrc_unaligned ; -- Begin function fft_rtc_back_len121_factors_11_11_wgs_121_tpt_11_half_op_CI_CI_sbrc_unaligned
	.globl	fft_rtc_back_len121_factors_11_11_wgs_121_tpt_11_half_op_CI_CI_sbrc_unaligned
	.p2align	8
	.type	fft_rtc_back_len121_factors_11_11_wgs_121_tpt_11_half_op_CI_CI_sbrc_unaligned,@function
fft_rtc_back_len121_factors_11_11_wgs_121_tpt_11_half_op_CI_CI_sbrc_unaligned: ; @fft_rtc_back_len121_factors_11_11_wgs_121_tpt_11_half_op_CI_CI_sbrc_unaligned
; %bb.0:
	s_clause 0x1
	s_load_dwordx8 s[8:15], s[4:5], 0x0
	s_load_dwordx2 s[24:25], s[4:5], 0x20
	s_mov_b32 s28, 0
	s_mov_b32 s26, 3
	s_mov_b64 s[30:31], 2
	s_mov_b32 s38, s28
	s_waitcnt lgkmcnt(0)
	s_load_dword s33, s[12:13], 0x8
	s_load_dwordx4 s[20:23], s[14:15], 0x0
	s_waitcnt lgkmcnt(0)
	s_add_i32 s0, s33, -1
	s_mul_hi_u32 s0, s0, 0xba2e8ba3
	s_lshr_b32 s0, s0, 3
	s_add_i32 s7, s0, 1
	v_cvt_f32_u32_e32 v1, s7
	s_sub_i32 s1, 0, s7
	v_rcp_iflag_f32_e32 v1, v1
	v_mul_f32_e32 v1, 0x4f7ffffe, v1
	v_cvt_u32_f32_e32 v1, v1
	v_readfirstlane_b32 s0, v1
	s_mul_i32 s1, s1, s0
	s_mul_hi_u32 s1, s0, s1
	s_add_i32 s16, s0, s1
	s_load_dwordx4 s[0:3], s[4:5], 0x58
	s_mul_hi_u32 s4, s6, s16
	s_load_dwordx4 s[16:19], s[24:25], 0x0
	s_mul_i32 s5, s4, s7
	s_waitcnt lgkmcnt(0)
	s_add_i32 s19, s4, 1
	s_sub_i32 s5, s6, s5
	s_sub_i32 s23, s5, s7
	s_cmp_ge_u32 s5, s7
	s_cselect_b32 s4, s19, s4
	s_cselect_b32 s5, s23, s5
	s_add_i32 s19, s4, 1
	s_cmp_ge_u32 s5, s7
	s_cselect_b32 s23, s19, s4
	v_cmp_gt_u64_e64 s4, s[10:11], 2
	s_mul_i32 s5, s23, s7
	s_sub_i32 s19, s6, s5
	s_mul_i32 s19, s19, 11
	s_and_b32 vcc_lo, exec_lo, s4
	s_mul_i32 s5, s17, s19
	s_mul_hi_u32 s27, s16, s19
	s_mul_i32 s39, s19, s22
	s_mul_i32 s4, s16, s19
	s_add_i32 s5, s27, s5
	s_cbranch_vccz .LBB0_8
.LBB0_1:                                ; =>This Inner Loop Header: Depth=1
	s_lshl_b64 s[34:35], s[30:31], 3
	s_add_u32 s30, s12, s34
	s_addc_u32 s31, s13, s35
	s_load_dwordx2 s[30:31], s[30:31], 0x0
	s_waitcnt lgkmcnt(0)
	s_mov_b32 s29, s31
	s_cmp_lg_u64 s[28:29], 0
	s_cbranch_scc0 .LBB0_6
; %bb.2:                                ;   in Loop: Header=BB0_1 Depth=1
	v_cvt_f32_u32_e32 v1, s30
	v_cvt_f32_u32_e32 v2, s31
	s_sub_u32 s36, 0, s30
	s_subb_u32 s37, 0, s31
	v_fmac_f32_e32 v1, 0x4f800000, v2
	v_rcp_f32_e32 v1, v1
	v_mul_f32_e32 v1, 0x5f7ffffc, v1
	v_mul_f32_e32 v2, 0x2f800000, v1
	v_trunc_f32_e32 v2, v2
	v_fmac_f32_e32 v1, 0xcf800000, v2
	v_cvt_u32_f32_e32 v2, v2
	v_cvt_u32_f32_e32 v1, v1
	v_readfirstlane_b32 s27, v2
	v_readfirstlane_b32 s29, v1
	s_mul_i32 s40, s36, s27
	s_mul_hi_u32 s42, s36, s29
	s_mul_i32 s41, s37, s29
	s_add_i32 s40, s42, s40
	s_mul_i32 s43, s36, s29
	s_add_i32 s40, s40, s41
	s_mul_hi_u32 s42, s29, s43
	s_mul_hi_u32 s44, s27, s43
	s_mul_i32 s41, s27, s43
	s_mul_hi_u32 s43, s29, s40
	s_mul_i32 s29, s29, s40
	s_mul_hi_u32 s45, s27, s40
	s_add_u32 s29, s42, s29
	s_addc_u32 s42, 0, s43
	s_add_u32 s29, s29, s41
	s_mul_i32 s40, s27, s40
	s_addc_u32 s29, s42, s44
	s_addc_u32 s41, s45, 0
	s_add_u32 s29, s29, s40
	s_addc_u32 s40, 0, s41
	v_add_co_u32 v1, s29, v1, s29
	s_cmp_lg_u32 s29, 0
	s_addc_u32 s27, s27, s40
	v_readfirstlane_b32 s29, v1
	s_mul_i32 s40, s36, s27
	s_mul_hi_u32 s41, s36, s29
	s_mul_i32 s37, s37, s29
	s_add_i32 s40, s41, s40
	s_mul_i32 s36, s36, s29
	s_add_i32 s40, s40, s37
	s_mul_hi_u32 s41, s27, s36
	s_mul_i32 s42, s27, s36
	s_mul_hi_u32 s36, s29, s36
	s_mul_hi_u32 s43, s29, s40
	s_mul_i32 s29, s29, s40
	s_mul_hi_u32 s37, s27, s40
	s_add_u32 s29, s36, s29
	s_addc_u32 s36, 0, s43
	s_add_u32 s29, s29, s42
	s_mul_i32 s40, s27, s40
	s_addc_u32 s29, s36, s41
	s_addc_u32 s36, s37, 0
	s_add_u32 s29, s29, s40
	s_addc_u32 s36, 0, s36
	v_add_co_u32 v1, s29, v1, s29
	s_cmp_lg_u32 s29, 0
	s_addc_u32 s27, s27, s36
	v_readfirstlane_b32 s29, v1
	s_mul_i32 s36, s23, s27
	s_mul_hi_u32 s27, s23, s27
	s_mul_hi_u32 s29, s23, s29
	s_add_u32 s29, s29, s36
	s_addc_u32 s29, 0, s27
	s_mul_i32 s27, s31, s29
	s_mul_hi_u32 s36, s30, s29
	s_mul_i32 s37, s30, s29
	s_add_i32 s36, s36, s27
	v_sub_co_u32 v1, s27, s23, s37
	s_sub_i32 s37, 0, s36
	s_cmp_lg_u32 s27, 0
	v_sub_co_u32 v2, s40, v1, s30
	s_subb_u32 s37, s37, s31
	s_cmp_lg_u32 s40, 0
	v_readfirstlane_b32 s40, v2
	s_subb_u32 s37, s37, 0
	s_cmp_ge_u32 s37, s31
	s_cselect_b32 s41, -1, 0
	s_cmp_ge_u32 s40, s30
	s_cselect_b32 s40, -1, 0
	s_cmp_eq_u32 s37, s31
	s_cselect_b32 s37, s40, s41
	s_add_u32 s40, s29, 1
	s_addc_u32 s41, 0, 0
	s_add_u32 s42, s29, 2
	s_addc_u32 s43, 0, 0
	s_cmp_lg_u32 s37, 0
	s_cselect_b32 s40, s42, s40
	s_cselect_b32 s37, s43, s41
	s_cmp_lg_u32 s27, 0
	v_readfirstlane_b32 s27, v1
	s_subb_u32 s36, 0, s36
	s_cmp_ge_u32 s36, s31
	s_cselect_b32 s41, -1, 0
	s_cmp_ge_u32 s27, s30
	s_cselect_b32 s27, -1, 0
	s_cmp_eq_u32 s36, s31
	s_cselect_b32 s27, s27, s41
	s_cmp_lg_u32 s27, 0
	s_cselect_b32 s37, s37, 0
	s_cselect_b32 s36, s40, s29
	s_cbranch_execnz .LBB0_4
.LBB0_3:                                ;   in Loop: Header=BB0_1 Depth=1
	v_cvt_f32_u32_e32 v1, s30
	s_sub_i32 s29, 0, s30
	v_rcp_iflag_f32_e32 v1, v1
	v_mul_f32_e32 v1, 0x4f7ffffe, v1
	v_cvt_u32_f32_e32 v1, v1
	v_readfirstlane_b32 s27, v1
	s_mul_i32 s29, s29, s27
	s_mul_hi_u32 s29, s27, s29
	s_add_i32 s27, s27, s29
	s_mul_hi_u32 s27, s23, s27
	s_mul_i32 s29, s27, s30
	s_add_i32 s36, s27, 1
	s_sub_i32 s29, s23, s29
	s_sub_i32 s37, s29, s30
	s_cmp_ge_u32 s29, s30
	s_cselect_b32 s27, s36, s27
	s_cselect_b32 s29, s37, s29
	s_add_i32 s36, s27, 1
	s_cmp_ge_u32 s29, s30
	s_mov_b32 s37, s28
	s_cselect_b32 s36, s36, s27
.LBB0_4:                                ;   in Loop: Header=BB0_1 Depth=1
	s_mul_i32 s27, s36, s31
	s_mul_hi_u32 s29, s36, s30
	s_mul_i32 s31, s36, s30
	s_add_i32 s27, s29, s27
	s_mul_i32 s29, s37, s30
	s_mul_i32 s7, s7, s30
	s_add_i32 s27, s27, s29
	s_sub_u32 s23, s23, s31
	s_subb_u32 s29, 0, s27
	s_add_u32 s40, s14, s34
	s_addc_u32 s41, s15, s35
	s_load_dwordx2 s[40:41], s[40:41], 0x0
	s_waitcnt lgkmcnt(0)
	s_mul_i32 s27, s40, s29
	s_mul_hi_u32 s31, s40, s23
	s_mul_i32 s37, s41, s23
	s_add_i32 s27, s31, s27
	s_mul_i32 s31, s40, s23
	s_add_i32 s27, s27, s37
	s_add_u32 s39, s31, s39
	s_addc_u32 s38, s27, s38
	s_add_u32 s34, s24, s34
	s_addc_u32 s35, s25, s35
	s_mov_b32 s27, s28
	s_load_dwordx2 s[34:35], s[34:35], 0x0
	s_mov_b64 s[30:31], s[26:27]
	v_cmp_ge_u64_e64 s27, s[26:27], s[10:11]
	s_waitcnt lgkmcnt(0)
	s_mul_i32 s29, s34, s29
	s_mul_hi_u32 s37, s34, s23
	s_mul_i32 s35, s35, s23
	s_add_i32 s29, s37, s29
	s_mul_i32 s23, s34, s23
	s_add_i32 s29, s29, s35
	s_add_u32 s4, s23, s4
	s_addc_u32 s5, s29, s5
	s_and_b32 vcc_lo, exec_lo, s27
	s_add_i32 s26, s26, 1
	s_cbranch_vccnz .LBB0_7
; %bb.5:                                ;   in Loop: Header=BB0_1 Depth=1
	s_mov_b32 s23, s36
	s_branch .LBB0_1
.LBB0_6:                                ;   in Loop: Header=BB0_1 Depth=1
                                        ; implicit-def: $sgpr36_sgpr37
	s_branch .LBB0_3
.LBB0_7:
	v_cvt_f32_u32_e32 v1, s7
	s_sub_i32 s13, 0, s7
	v_rcp_iflag_f32_e32 v1, v1
	v_mul_f32_e32 v1, 0x4f7ffffe, v1
	v_cvt_u32_f32_e32 v1, v1
	v_readfirstlane_b32 s12, v1
	s_mul_i32 s13, s13, s12
	s_mul_hi_u32 s13, s12, s13
	s_add_i32 s12, s12, s13
	s_mul_hi_u32 s12, s6, s12
	s_mul_i32 s13, s12, s7
	s_sub_i32 s6, s6, s13
	s_add_i32 s13, s12, 1
	s_sub_i32 s23, s6, s7
	s_cmp_ge_u32 s6, s7
	s_cselect_b32 s12, s13, s12
	s_cselect_b32 s6, s23, s6
	s_add_i32 s13, s12, 1
	s_cmp_ge_u32 s6, s7
	s_cselect_b32 s23, s13, s12
.LBB0_8:
	s_lshl_b64 s[6:7], s[10:11], 3
	v_mul_u32_u24_e32 v1, 0x21e, v0
	s_add_u32 s10, s14, s6
	s_addc_u32 s11, s15, s7
	s_mov_b32 s13, -1
	s_load_dwordx2 s[10:11], s[10:11], 0x0
	v_lshrrev_b32_e32 v3, 16, v1
	v_mul_lo_u16 v1, 0x79, v3
	v_sub_nc_u16 v1, v0, v1
	v_and_b32_e32 v4, 0xffff, v1
	s_waitcnt lgkmcnt(0)
	s_mul_i32 s11, s11, s23
	s_mul_hi_u32 s12, s10, s23
	s_mul_i32 s10, s10, s23
	s_add_i32 s12, s12, s11
	s_add_u32 s10, s10, s39
	s_addc_u32 s11, s12, s38
	s_add_u32 s6, s24, s6
	s_addc_u32 s7, s25, s7
	s_add_i32 s12, s19, 11
	s_load_dwordx2 s[6:7], s[6:7], 0x0
	s_cmp_le_u32 s12, s33
	s_cselect_b32 s12, -1, 0
	s_and_b32 vcc_lo, exec_lo, s12
	s_cbranch_vccnz .LBB0_13
; %bb.9:
	v_add_nc_u32_e32 v5, s19, v3
	s_mov_b32 s13, exec_lo
	v_cmpx_gt_u32_e64 s33, v5
	s_cbranch_execz .LBB0_12
; %bb.10:
	v_mad_u64_u32 v[1:2], null, s20, v4, 0
	s_lshl_b64 s[14:15], s[10:11], 2
	v_lshlrev_b32_e32 v9, 2, v4
	s_add_u32 s14, s0, s14
	s_addc_u32 s15, s1, s15
	v_mad_u64_u32 v[6:7], null, s21, v4, v[2:3]
	v_mov_b32_e32 v2, v6
	v_mul_u32_u24_e32 v6, 0x1e4, v3
	v_lshlrev_b64 v[7:8], 2, v[1:2]
	v_mul_lo_u32 v1, v3, s22
	v_add3_u32 v6, v6, v9, 0
	v_mov_b32_e32 v2, 0
	v_add_co_u32 v7, vcc_lo, s14, v7
	v_add_co_ci_u32_e32 v8, vcc_lo, s15, v8, vcc_lo
	s_mov_b32 s14, 0
	.p2align	6
.LBB0_11:                               ; =>This Inner Loop Header: Depth=1
	v_lshlrev_b64 v[9:10], 2, v[1:2]
	v_add_nc_u32_e32 v5, 1, v5
	v_add_nc_u32_e32 v1, s22, v1
	v_add_co_u32 v9, vcc_lo, v7, v9
	v_add_co_ci_u32_e32 v10, vcc_lo, v8, v10, vcc_lo
	v_cmp_le_u32_e32 vcc_lo, s33, v5
	global_load_dword v9, v[9:10], off
	s_or_b32 s14, vcc_lo, s14
	s_waitcnt vmcnt(0)
	ds_write_b32 v6, v9
	v_add_nc_u32_e32 v6, 0x1e4, v6
	s_andn2_b32 exec_lo, exec_lo, s14
	s_cbranch_execnz .LBB0_11
.LBB0_12:
	s_or_b32 exec_lo, exec_lo, s13
	s_mov_b32 s13, 0
.LBB0_13:
	s_andn2_b32 vcc_lo, exec_lo, s13
	s_cbranch_vccnz .LBB0_15
; %bb.14:
	v_mad_u64_u32 v[1:2], null, s20, v4, 0
	v_mul_lo_u32 v5, s22, v3
	v_mov_b32_e32 v6, 0
	s_lshl_b64 s[10:11], s[10:11], 2
	s_add_u32 s0, s0, s10
	s_addc_u32 s1, s1, s11
	v_mad_u64_u32 v[9:10], null, s21, v4, v[2:3]
	v_lshlrev_b64 v[7:8], 2, v[5:6]
	v_add_nc_u32_e32 v5, s22, v5
	v_mul_u32_u24_e32 v3, 0x1e4, v3
	v_lshlrev_b32_e32 v4, 2, v4
	v_lshlrev_b64 v[10:11], 2, v[5:6]
	v_mov_b32_e32 v2, v9
	v_add_nc_u32_e32 v5, s22, v5
	v_add3_u32 v3, 0, v3, v4
	v_lshlrev_b64 v[1:2], 2, v[1:2]
	v_lshlrev_b64 v[12:13], 2, v[5:6]
	v_add_nc_u32_e32 v5, s22, v5
	v_add_nc_u32_e32 v4, 0x200, v3
	v_add_co_u32 v25, vcc_lo, s0, v1
	v_add_co_ci_u32_e32 v26, vcc_lo, s1, v2, vcc_lo
	v_lshlrev_b64 v[14:15], 2, v[5:6]
	v_add_nc_u32_e32 v5, s22, v5
	v_add_co_u32 v1, vcc_lo, v25, v7
	v_add_co_ci_u32_e32 v2, vcc_lo, v26, v8, vcc_lo
	v_add_co_u32 v7, vcc_lo, v25, v10
	v_lshlrev_b64 v[16:17], 2, v[5:6]
	v_add_nc_u32_e32 v5, s22, v5
	v_add_co_ci_u32_e32 v8, vcc_lo, v26, v11, vcc_lo
	v_add_co_u32 v9, vcc_lo, v25, v12
	v_add_co_ci_u32_e32 v10, vcc_lo, v26, v13, vcc_lo
	v_add_co_u32 v11, vcc_lo, v25, v14
	v_lshlrev_b64 v[13:14], 2, v[5:6]
	v_add_nc_u32_e32 v5, s22, v5
	v_add_co_ci_u32_e32 v12, vcc_lo, v26, v15, vcc_lo
	v_add_co_u32 v15, vcc_lo, v25, v16
	v_add_co_ci_u32_e32 v16, vcc_lo, v26, v17, vcc_lo
	v_lshlrev_b64 v[17:18], 2, v[5:6]
	v_add_nc_u32_e32 v5, s22, v5
	v_add_co_u32 v13, vcc_lo, v25, v13
	v_add_co_ci_u32_e32 v14, vcc_lo, v26, v14, vcc_lo
	v_lshlrev_b64 v[19:20], 2, v[5:6]
	v_add_nc_u32_e32 v5, s22, v5
	v_add_co_u32 v17, vcc_lo, v25, v17
	v_add_co_ci_u32_e32 v18, vcc_lo, v26, v18, vcc_lo
	v_lshlrev_b64 v[21:22], 2, v[5:6]
	v_add_nc_u32_e32 v5, s22, v5
	v_add_co_u32 v19, vcc_lo, v25, v19
	v_add_co_ci_u32_e32 v20, vcc_lo, v26, v20, vcc_lo
	v_lshlrev_b64 v[23:24], 2, v[5:6]
	v_add_nc_u32_e32 v5, s22, v5
	v_add_co_u32 v21, vcc_lo, v25, v21
	v_add_co_ci_u32_e32 v22, vcc_lo, v26, v22, vcc_lo
	v_lshlrev_b64 v[5:6], 2, v[5:6]
	v_add_co_u32 v23, vcc_lo, v25, v23
	v_add_co_ci_u32_e32 v24, vcc_lo, v26, v24, vcc_lo
	v_add_co_u32 v5, vcc_lo, v25, v5
	v_add_co_ci_u32_e32 v6, vcc_lo, v26, v6, vcc_lo
	s_clause 0xa
	global_load_dword v1, v[1:2], off
	global_load_dword v2, v[7:8], off
	;; [unrolled: 1-line block ×11, first 2 shown]
	v_add_nc_u32_e32 v6, 0x600, v3
	v_add_nc_u32_e32 v15, 0xa00, v3
	;; [unrolled: 1-line block ×3, first 2 shown]
	s_waitcnt vmcnt(9)
	ds_write2_b32 v3, v1, v2 offset1:121
	s_waitcnt vmcnt(7)
	ds_write2_b32 v4, v7, v8 offset0:114 offset1:235
	s_waitcnt vmcnt(5)
	ds_write2_b32 v6, v9, v10 offset0:100 offset1:221
	;; [unrolled: 2-line block ×4, first 2 shown]
	s_waitcnt vmcnt(0)
	ds_write_b32 v3, v5 offset:4840
.LBB0_15:
	v_mov_b32_e32 v1, 0x1746
	v_mul_hi_u32 v4, 0x1745d175, v0
	s_waitcnt lgkmcnt(0)
	s_barrier
	buffer_gl0_inv
	v_mul_u32_u24_sdwa v1, v0, v1 dst_sel:DWORD dst_unused:UNUSED_PAD src0_sel:WORD_0 src1_sel:DWORD
	v_mov_b32_e32 v16, 0x3abb
	v_mov_b32_e32 v17, 0xbb47
	;; [unrolled: 1-line block ×3, first 2 shown]
	v_mul_u32_u24_e32 v4, 11, v4
	v_lshrrev_b32_e32 v1, 16, v1
	v_mov_b32_e32 v18, 0x36a6
	v_mov_b32_e32 v20, 0xb08e
	;; [unrolled: 1-line block ×3, first 2 shown]
	v_sub_nc_u32_e32 v0, v0, v4
	v_add_nc_u32_e32 v2, s19, v1
	v_mov_b32_e32 v22, 0xb93d
	v_mov_b32_e32 v19, 0xbbeb
	;; [unrolled: 1-line block ×3, first 2 shown]
	v_lshlrev_b32_e32 v4, 2, v0
	v_mul_hi_u32 v3, 0xba2e8ba3, v2
	v_mov_b32_e32 v23, 0x3482
	v_mov_b32_e32 v25, 0x3beb
	v_lshrrev_b32_e32 v3, 3, v3
	v_mul_lo_u32 v3, v3, 11
	v_sub_nc_u32_e32 v2, v2, v3
	v_mul_u32_u24_e32 v2, 0x79, v2
	v_lshlrev_b32_e32 v2, 2, v2
	v_add3_u32 v3, 0, v2, v4
	v_add3_u32 v2, 0, v4, v2
	ds_read_b32 v14, v3
	ds_read2_b32 v[4:5], v2 offset0:11 offset1:22
	ds_read2_b32 v[6:7], v2 offset0:33 offset1:44
	;; [unrolled: 1-line block ×5, first 2 shown]
	v_mad_u32_u24 v26, v0, 40, v2
	s_waitcnt lgkmcnt(0)
	s_barrier
	buffer_gl0_inv
	v_alignbit_b32 v28, s0, v4, 16
	v_pk_add_f16 v27, v4, v14 op_sel_hi:[1,0]
	v_alignbit_b32 v29, s0, v5, 16
	v_alignbit_b32 v30, s0, v6, 16
	v_pk_add_f16 v39, v12, v5
	v_pk_add_f16 v28, v28, v14 op_sel:[0,1] op_sel_hi:[1,0]
	v_pk_add_f16 v40, v5, v12 neg_lo:[0,1] neg_hi:[0,1]
	v_pk_add_f16 v5, v27, v5
	v_alignbit_b32 v31, s0, v7, 16
	v_alignbit_b32 v32, s0, v8, 16
	v_pk_add_f16 v28, v28, v29
	v_alignbit_b32 v33, s0, v9, 16
	v_pk_add_f16 v5, v5, v6
	v_alignbit_b32 v34, s0, v10, 16
	v_alignbit_b32 v35, s0, v11, 16
	v_pk_add_f16 v28, v28, v30
	v_alignbit_b32 v36, s0, v12, 16
	v_pk_add_f16 v5, v5, v7
	v_pk_add_f16 v38, v13, v4
	v_pk_add_f16 v4, v4, v13 neg_lo:[0,1] neg_hi:[0,1]
	v_pk_add_f16 v28, v28, v31
	v_alignbit_b32 v37, s0, v13, 16
	v_pk_add_f16 v5, v5, v8
	v_mul_f16_sdwa v41, v38, v16 dst_sel:DWORD dst_unused:UNUSED_PAD src0_sel:WORD_1 src1_sel:DWORD
	v_mul_f16_sdwa v42, v4, v17 dst_sel:DWORD dst_unused:UNUSED_PAD src0_sel:WORD_1 src1_sel:DWORD
	v_pk_add_f16 v28, v28, v32
	v_mul_f16_sdwa v27, v4, v15 dst_sel:DWORD dst_unused:UNUSED_PAD src0_sel:WORD_1 src1_sel:DWORD
	v_pk_add_f16 v5, v5, v9
	v_mul_f16_sdwa v43, v38, v18 dst_sel:DWORD dst_unused:UNUSED_PAD src0_sel:WORD_1 src1_sel:DWORD
	v_mul_f16_sdwa v45, v38, v20 dst_sel:DWORD dst_unused:UNUSED_PAD src0_sel:WORD_1 src1_sel:DWORD
	v_pk_add_f16 v28, v28, v33
	v_mul_f16_sdwa v47, v38, v22 dst_sel:DWORD dst_unused:UNUSED_PAD src0_sel:WORD_1 src1_sel:DWORD
	v_pk_add_f16 v5, v5, v10
	v_pk_mul_f16 v48, 0xbbad, v38 op_sel_hi:[0,1]
	v_mul_f16_sdwa v49, v39, v18 dst_sel:DWORD dst_unused:UNUSED_PAD src0_sel:WORD_1 src1_sel:DWORD
	v_pk_add_f16 v28, v28, v34
	v_mul_f16_sdwa v50, v40, v21 dst_sel:DWORD dst_unused:UNUSED_PAD src0_sel:WORD_1 src1_sel:DWORD
	v_pk_add_f16 v5, v5, v11
	v_fmamk_f16 v53, v4, 0x3853, v41
	v_fmamk_f16 v54, v38, 0x36a6, v42
	v_pk_add_f16 v28, v28, v35
	v_fma_f16 v42, v38, 0x36a6, -v42
	v_pk_add_f16 v5, v5, v12
	v_mul_f16_sdwa v44, v4, v19 dst_sel:DWORD dst_unused:UNUSED_PAD src0_sel:WORD_1 src1_sel:DWORD
	v_mul_f16_sdwa v46, v4, v21 dst_sel:DWORD dst_unused:UNUSED_PAD src0_sel:WORD_1 src1_sel:DWORD
	v_pk_add_f16 v12, v28, v36
	v_mul_f16_sdwa v17, v40, v17 dst_sel:DWORD dst_unused:UNUSED_PAD src0_sel:WORD_1 src1_sel:DWORD
	v_pk_add_f16 v5, v5, v13
	v_fmamk_f16 v29, v38, 0x3abb, v27
	v_fma_f16 v27, v38, 0x3abb, -v27
	v_pk_add_f16 v12, v12, v37
	v_fmac_f16_e32 v41, 0xb853, v4
	v_fmamk_f16 v55, v4, 0x3b47, v43
	v_fmac_f16_e32 v43, 0xbb47, v4
	v_fmamk_f16 v57, v4, 0x3beb, v45
	;; [unrolled: 2-line block ×3, first 2 shown]
	v_fmac_f16_e32 v47, 0xba0c, v4
	v_pk_fma_f16 v30, 0xb482, v4, v48 op_sel:[0,0,1] op_sel_hi:[0,1,0]
	v_pk_fma_f16 v4, 0xb482, v4, v48 op_sel:[0,0,1] op_sel_hi:[0,1,0] neg_lo:[0,1,0] neg_hi:[0,1,0]
	v_fmamk_f16 v31, v40, 0x3b47, v49
	v_fmamk_f16 v48, v39, 0xb93d, v50
	v_fma_f16 v50, v39, 0xb93d, -v50
	v_add_f16_sdwa v53, v53, v14 dst_sel:DWORD dst_unused:UNUSED_PAD src0_sel:DWORD src1_sel:WORD_1
	v_add_f16_e32 v42, v42, v14
	v_perm_b32 v5, v5, v12, 0x1000504
	v_mul_f16_sdwa v12, v39, v24 dst_sel:DWORD dst_unused:UNUSED_PAD src0_sel:WORD_1 src1_sel:DWORD
	v_mul_f16_sdwa v51, v39, v22 dst_sel:DWORD dst_unused:UNUSED_PAD src0_sel:WORD_1 src1_sel:DWORD
	;; [unrolled: 1-line block ×3, first 2 shown]
	v_fmamk_f16 v56, v38, 0xb08e, v44
	v_fma_f16 v44, v38, 0xb08e, -v44
	v_fmamk_f16 v58, v38, 0xb93d, v46
	v_fma_f16 v38, v38, 0xb93d, -v46
	v_fmamk_f16 v46, v39, 0x36a6, v17
	v_fma_f16 v17, v39, 0x36a6, -v17
	v_fmac_f16_e32 v49, 0xbb47, v40
	v_add_f16_e32 v27, v27, v14
	v_add_f16_sdwa v41, v41, v14 dst_sel:DWORD dst_unused:UNUSED_PAD src0_sel:DWORD src1_sel:WORD_1
	v_add_f16_sdwa v34, v45, v14 dst_sel:DWORD dst_unused:UNUSED_PAD src0_sel:DWORD src1_sel:WORD_1
	v_add_f16_e32 v28, v31, v53
	v_add_f16_e32 v31, v50, v42
	v_fmamk_f16 v37, v40, 0xb482, v12
	v_fmac_f16_e32 v12, 0x3482, v40
	v_mul_f16_sdwa v42, v39, v20 dst_sel:DWORD dst_unused:UNUSED_PAD src0_sel:WORD_1 src1_sel:DWORD
	v_fmamk_f16 v32, v40, 0x3a0c, v51
	v_fmac_f16_e32 v51, 0xba0c, v40
	v_add_f16_e32 v29, v29, v14
	v_add_f16_sdwa v55, v55, v14 dst_sel:DWORD dst_unused:UNUSED_PAD src0_sel:DWORD src1_sel:WORD_1
	v_add_f16_sdwa v43, v43, v14 dst_sel:DWORD dst_unused:UNUSED_PAD src0_sel:DWORD src1_sel:WORD_1
	v_add_f16_e32 v44, v44, v14
	v_add_f16_e32 v45, v58, v14
	v_add_f16_sdwa v58, v59, v14 dst_sel:DWORD dst_unused:UNUSED_PAD src0_sel:DWORD src1_sel:WORD_1
	v_add_f16_e32 v13, v17, v27
	v_add_f16_e32 v17, v49, v41
	v_mul_f16_sdwa v36, v40, v25 dst_sel:DWORD dst_unused:UNUSED_PAD src0_sel:WORD_1 src1_sel:DWORD
	v_fma_f16 v41, v39, 0xbbad, -v52
	v_add_f16_e32 v12, v12, v34
	v_fmamk_f16 v34, v40, 0xbbeb, v42
	v_add_f16_e32 v54, v54, v14
	v_add_f16_e32 v56, v56, v14
	v_add_f16_sdwa v57, v57, v14 dst_sel:DWORD dst_unused:UNUSED_PAD src0_sel:DWORD src1_sel:WORD_1
	v_add_f16_e32 v35, v38, v14
	v_add_f16_sdwa v38, v47, v14 dst_sel:DWORD dst_unused:UNUSED_PAD src0_sel:DWORD src1_sel:WORD_1
	v_pk_add_f16 v30, v30, v14 op_sel:[0,1] op_sel_hi:[1,0]
	v_pk_add_f16 v4, v4, v14 op_sel:[0,1] op_sel_hi:[1,0]
	v_add_f16_e32 v14, v46, v29
	v_add_f16_e32 v29, v32, v55
	;; [unrolled: 1-line block ×3, first 2 shown]
	v_fmamk_f16 v43, v39, 0xb08e, v36
	v_add_f16_e32 v41, v41, v44
	v_fma_f16 v36, v39, 0xb08e, -v36
	v_pk_add_f16 v44, v6, v11 neg_lo:[0,1] neg_hi:[0,1]
	v_pk_add_f16 v6, v11, v6
	v_add_f16_e32 v11, v34, v58
	v_pk_mul_f16 v34, 0x3abb, v39 op_sel_hi:[0,1]
	v_fmamk_f16 v33, v39, 0xbbad, v52
	v_add_f16_e32 v35, v36, v35
	v_mul_f16_sdwa v19, v44, v19 dst_sel:DWORD dst_unused:UNUSED_PAD src0_sel:WORD_1 src1_sel:DWORD
	v_mul_f16_sdwa v36, v6, v20 dst_sel:DWORD dst_unused:UNUSED_PAD src0_sel:WORD_1 src1_sel:DWORD
	v_pk_fma_f16 v39, 0x3853, v40, v34 op_sel:[0,0,1] op_sel_hi:[0,1,0]
	v_pk_fma_f16 v34, 0x3853, v40, v34 op_sel:[0,0,1] op_sel_hi:[0,1,0] neg_lo:[0,1,0] neg_hi:[0,1,0]
	v_add_f16_e32 v43, v43, v45
	v_fmac_f16_e32 v42, 0x3beb, v40
	v_fmamk_f16 v40, v6, 0xb08e, v19
	v_fmamk_f16 v45, v44, 0x3beb, v36
	v_pk_add_f16 v30, v39, v30
	v_pk_add_f16 v4, v34, v4
	v_mul_f16_sdwa v23, v44, v23 dst_sel:DWORD dst_unused:UNUSED_PAD src0_sel:WORD_1 src1_sel:DWORD
	v_fma_f16 v19, v6, 0xb08e, -v19
	v_fmac_f16_e32 v36, 0xbbeb, v44
	v_mov_b32_e32 v34, 0x3b47
	v_mul_f16_sdwa v39, v6, v24 dst_sel:DWORD dst_unused:UNUSED_PAD src0_sel:WORD_1 src1_sel:DWORD
	v_add_f16_e32 v27, v48, v54
	v_add_f16_e32 v14, v40, v14
	v_fmamk_f16 v40, v6, 0xbbad, v23
	v_add_f16_e32 v13, v19, v13
	v_add_f16_e32 v17, v36, v17
	v_mul_f16_sdwa v19, v44, v34 dst_sel:DWORD dst_unused:UNUSED_PAD src0_sel:WORD_1 src1_sel:DWORD
	v_fmamk_f16 v36, v44, 0xb482, v39
	v_add_f16_e32 v33, v33, v56
	v_add_f16_e32 v27, v40, v27
	v_fma_f16 v23, v6, 0xbbad, -v23
	v_fmac_f16_e32 v39, 0x3482, v44
	v_fmamk_f16 v40, v6, 0x36a6, v19
	v_add_f16_e32 v29, v36, v29
	v_mul_f16_sdwa v36, v6, v18 dst_sel:DWORD dst_unused:UNUSED_PAD src0_sel:WORD_1 src1_sel:DWORD
	v_fma_f16 v19, v6, 0x36a6, -v19
	v_add_f16_e32 v37, v37, v57
	v_add_f16_e32 v23, v23, v31
	;; [unrolled: 1-line block ×4, first 2 shown]
	v_mul_f16_sdwa v33, v44, v15 dst_sel:DWORD dst_unused:UNUSED_PAD src0_sel:WORD_1 src1_sel:DWORD
	v_fmamk_f16 v39, v44, 0xbb47, v36
	v_mul_f16_sdwa v40, v6, v16 dst_sel:DWORD dst_unused:UNUSED_PAD src0_sel:WORD_1 src1_sel:DWORD
	v_add_f16_e32 v19, v19, v41
	v_pk_add_f16 v41, v7, v10 neg_lo:[0,1] neg_hi:[0,1]
	v_add_f16_e32 v38, v42, v38
	v_fmac_f16_e32 v36, 0x3b47, v44
	v_fmamk_f16 v42, v6, 0x3abb, v33
	v_add_f16_e32 v37, v39, v37
	v_fmamk_f16 v39, v44, 0x3853, v40
	v_fma_f16 v33, v6, 0x3abb, -v33
	v_pk_mul_f16 v6, 0xb93d, v6 op_sel_hi:[0,1]
	v_pk_add_f16 v7, v10, v7
	v_mul_f16_sdwa v10, v41, v21 dst_sel:DWORD dst_unused:UNUSED_PAD src0_sel:WORD_1 src1_sel:DWORD
	v_add_f16_e32 v12, v36, v12
	v_add_f16_e32 v36, v42, v43
	;; [unrolled: 1-line block ×4, first 2 shown]
	v_pk_fma_f16 v35, 0xba0c, v44, v6 op_sel:[0,0,1] op_sel_hi:[0,1,0]
	v_pk_fma_f16 v6, 0xba0c, v44, v6 op_sel:[0,0,1] op_sel_hi:[0,1,0] neg_lo:[0,1,0] neg_hi:[0,1,0]
	v_fmamk_f16 v39, v7, 0xb93d, v10
	v_mul_f16_sdwa v42, v7, v22 dst_sel:DWORD dst_unused:UNUSED_PAD src0_sel:WORD_1 src1_sel:DWORD
	v_add_f16_e32 v28, v45, v28
	v_mul_f16_sdwa v25, v41, v25 dst_sel:DWORD dst_unused:UNUSED_PAD src0_sel:WORD_1 src1_sel:DWORD
	v_pk_add_f16 v4, v6, v4
	v_add_f16_e32 v6, v39, v14
	v_fmamk_f16 v14, v41, 0x3a0c, v42
	v_mul_f16_sdwa v20, v7, v20 dst_sel:DWORD dst_unused:UNUSED_PAD src0_sel:WORD_1 src1_sel:DWORD
	v_pk_add_f16 v30, v35, v30
	v_fma_f16 v10, v7, 0xb93d, -v10
	v_fmac_f16_e32 v42, 0xba0c, v41
	v_add_f16_e32 v14, v14, v28
	v_fmamk_f16 v28, v7, 0xb08e, v25
	v_fmamk_f16 v35, v41, 0xbbeb, v20
	v_mul_f16_sdwa v15, v41, v15 dst_sel:DWORD dst_unused:UNUSED_PAD src0_sel:WORD_1 src1_sel:DWORD
	v_add_f16_e32 v10, v10, v13
	v_add_f16_e32 v13, v42, v17
	;; [unrolled: 1-line block ×4, first 2 shown]
	v_fma_f16 v25, v7, 0xb08e, -v25
	v_fmac_f16_e32 v20, 0x3beb, v41
	v_fmamk_f16 v28, v7, 0x3abb, v15
	v_mov_b32_e32 v29, 0xb482
	v_mul_f16_sdwa v35, v7, v16 dst_sel:DWORD dst_unused:UNUSED_PAD src0_sel:WORD_1 src1_sel:DWORD
	v_fmac_f16_e32 v40, 0xb853, v44
	v_add_f16_e32 v23, v25, v23
	v_add_f16_e32 v20, v20, v31
	v_add_f16_e32 v25, v28, v32
	v_mul_f16_sdwa v28, v41, v29 dst_sel:DWORD dst_unused:UNUSED_PAD src0_sel:WORD_1 src1_sel:DWORD
	v_fmamk_f16 v31, v41, 0x3853, v35
	v_mul_f16_sdwa v32, v7, v24 dst_sel:DWORD dst_unused:UNUSED_PAD src0_sel:WORD_1 src1_sel:DWORD
	v_fmac_f16_e32 v35, 0xb853, v41
	v_add_f16_e32 v38, v40, v38
	v_fma_f16 v15, v7, 0x3abb, -v15
	v_fmamk_f16 v39, v7, 0xbbad, v28
	v_add_f16_e32 v31, v31, v37
	v_fmamk_f16 v37, v41, 0x3482, v32
	v_add_f16_e32 v12, v35, v12
	v_fma_f16 v28, v7, 0xbbad, -v28
	v_pk_add_f16 v35, v8, v9 neg_lo:[0,1] neg_hi:[0,1]
	v_fmac_f16_e32 v32, 0xb482, v41
	v_pk_mul_f16 v7, 0x36a6, v7 op_sel_hi:[0,1]
	v_pk_add_f16 v8, v9, v8
	v_add_f16_e32 v28, v28, v33
	v_mul_f16_sdwa v9, v35, v29 dst_sel:DWORD dst_unused:UNUSED_PAD src0_sel:WORD_1 src1_sel:DWORD
	v_add_f16_e32 v29, v32, v38
	v_pk_fma_f16 v32, 0x3b47, v41, v7 op_sel:[0,0,1] op_sel_hi:[0,1,0]
	v_pk_fma_f16 v7, 0x3b47, v41, v7 op_sel:[0,0,1] op_sel_hi:[0,1,0] neg_lo:[0,1,0] neg_hi:[0,1,0]
	v_mov_b32_e32 v33, 0x3853
	v_mul_f16_sdwa v24, v8, v24 dst_sel:DWORD dst_unused:UNUSED_PAD src0_sel:WORD_1 src1_sel:DWORD
	v_add_f16_e32 v15, v15, v19
	v_add_f16_e32 v19, v39, v36
	v_pk_add_f16 v4, v7, v4
	v_mul_f16_sdwa v7, v35, v33 dst_sel:DWORD dst_unused:UNUSED_PAD src0_sel:WORD_1 src1_sel:DWORD
	v_fmamk_f16 v36, v8, 0xbbad, v9
	v_pk_add_f16 v30, v32, v30
	v_fmamk_f16 v32, v35, 0x3482, v24
	v_fma_f16 v9, v8, 0xbbad, -v9
	v_fmac_f16_e32 v24, 0xb482, v35
	v_fmamk_f16 v33, v8, 0x3abb, v7
	v_mul_f16_sdwa v16, v8, v16 dst_sel:DWORD dst_unused:UNUSED_PAD src0_sel:WORD_1 src1_sel:DWORD
	v_mul_f16_sdwa v21, v35, v21 dst_sel:DWORD dst_unused:UNUSED_PAD src0_sel:WORD_1 src1_sel:DWORD
	v_add_f16_e32 v9, v9, v10
	v_add_f16_e32 v10, v24, v13
	;; [unrolled: 1-line block ×3, first 2 shown]
	v_fmamk_f16 v17, v35, 0xb853, v16
	v_fma_f16 v7, v8, 0x3abb, -v7
	v_fmac_f16_e32 v16, 0x3853, v35
	v_mul_f16_sdwa v22, v8, v22 dst_sel:DWORD dst_unused:UNUSED_PAD src0_sel:WORD_1 src1_sel:DWORD
	v_fmamk_f16 v24, v8, 0xb93d, v21
	v_fma_f16 v21, v8, 0xb93d, -v21
	v_add_f16_e32 v7, v7, v23
	v_add_f16_e32 v16, v16, v20
	v_fmamk_f16 v20, v35, 0x3a0c, v22
	v_mul_f16_sdwa v23, v35, v34 dst_sel:DWORD dst_unused:UNUSED_PAD src0_sel:WORD_1 src1_sel:DWORD
	v_fmac_f16_e32 v22, 0xba0c, v35
	v_mul_f16_sdwa v18, v8, v18 dst_sel:DWORD dst_unused:UNUSED_PAD src0_sel:WORD_1 src1_sel:DWORD
	v_add_f16_e32 v15, v21, v15
	v_pk_mul_f16 v21, 0xb08e, v8 op_sel_hi:[0,1]
	v_add_f16_e32 v11, v37, v11
	v_add_f16_e32 v24, v24, v25
	v_fmamk_f16 v25, v8, 0x36a6, v23
	v_add_f16_e32 v12, v22, v12
	v_fmamk_f16 v22, v35, 0xbb47, v18
	v_add_f16_e32 v6, v36, v6
	v_add_f16_e32 v14, v32, v14
	;; [unrolled: 1-line block ×3, first 2 shown]
	v_fma_f16 v8, v8, 0x36a6, -v23
	v_pk_fma_f16 v23, 0xbbeb, v35, v21 op_sel:[0,0,1] op_sel_hi:[0,1,0]
	v_pk_fma_f16 v21, 0xbbeb, v35, v21 op_sel:[0,0,1] op_sel_hi:[0,1,0] neg_lo:[0,1,0] neg_hi:[0,1,0]
	v_fmac_f16_e32 v18, 0x3b47, v35
	v_add_f16_e32 v20, v20, v31
	v_add_f16_e32 v19, v25, v19
	;; [unrolled: 1-line block ×3, first 2 shown]
	v_pk_add_f16 v22, v23, v30
	v_pk_add_f16 v4, v21, v4
	v_pack_b32_f16 v13, v13, v17
	v_pack_b32_f16 v6, v6, v14
	v_add_f16_e32 v8, v8, v28
	v_add_f16_e32 v18, v18, v29
	ds_write_b32 v26, v5
	ds_write2_b32 v26, v6, v13 offset0:1 offset1:2
	v_pack_b32_f16 v5, v19, v11
	v_pack_b32_f16 v6, v24, v20
	;; [unrolled: 1-line block ×3, first 2 shown]
	v_mul_u32_u24_e32 v10, 10, v0
	v_alignbit_b32 v11, v22, v4, 16
	v_alignbit_b32 v4, v4, v22, 16
	v_pack_b32_f16 v12, v15, v12
	v_pack_b32_f16 v8, v8, v18
	;; [unrolled: 1-line block ×3, first 2 shown]
	ds_write2_b32 v26, v6, v5 offset0:3 offset1:4
	ds_write2_b32 v26, v4, v11 offset0:5 offset1:6
	;; [unrolled: 1-line block ×3, first 2 shown]
	v_lshlrev_b32_e32 v12, 2, v10
	ds_write2_b32 v26, v7, v9 offset0:9 offset1:10
	s_waitcnt lgkmcnt(0)
	s_barrier
	buffer_gl0_inv
	s_clause 0x2
	global_load_dwordx4 v[4:7], v12, s[8:9]
	global_load_dwordx4 v[8:11], v12, s[8:9] offset:16
	global_load_dwordx2 v[12:13], v12, s[8:9] offset:32
	ds_read2_b32 v[14:15], v2 offset0:55 offset1:66
	ds_read2_b32 v[16:17], v2 offset0:77 offset1:88
	;; [unrolled: 1-line block ×5, first 2 shown]
	ds_read_u16 v24, v2 offset:222
	ds_read_b32 v3, v3
	s_waitcnt vmcnt(0) lgkmcnt(0)
	s_barrier
	buffer_gl0_inv
	v_lshrrev_b32_e32 v25, 16, v15
	v_lshrrev_b32_e32 v27, 16, v17
	;; [unrolled: 1-line block ×9, first 2 shown]
	v_mul_f16_sdwa v34, v4, v29 dst_sel:DWORD dst_unused:UNUSED_PAD src0_sel:WORD_1 src1_sel:DWORD
	v_mul_f16_sdwa v35, v4, v20 dst_sel:DWORD dst_unused:UNUSED_PAD src0_sel:WORD_1 src1_sel:DWORD
	v_mul_f16_sdwa v36, v5, v31 dst_sel:DWORD dst_unused:UNUSED_PAD src0_sel:WORD_1 src1_sel:DWORD
	v_mul_f16_sdwa v37, v5, v21 dst_sel:DWORD dst_unused:UNUSED_PAD src0_sel:WORD_1 src1_sel:DWORD
	v_mul_f16_sdwa v44, v25, v9 dst_sel:DWORD dst_unused:UNUSED_PAD src0_sel:DWORD src1_sel:WORD_1
	v_mul_f16_sdwa v50, v28, v12 dst_sel:DWORD dst_unused:UNUSED_PAD src0_sel:DWORD src1_sel:WORD_1
	;; [unrolled: 1-line block ×3, first 2 shown]
	v_fmac_f16_e32 v34, v4, v20
	v_fma_f16 v4, v4, v29, -v35
	v_mul_f16_sdwa v38, v6, v32 dst_sel:DWORD dst_unused:UNUSED_PAD src0_sel:WORD_1 src1_sel:DWORD
	v_mul_f16_sdwa v39, v6, v22 dst_sel:DWORD dst_unused:UNUSED_PAD src0_sel:WORD_1 src1_sel:DWORD
	v_mul_f16_sdwa v45, v15, v9 dst_sel:DWORD dst_unused:UNUSED_PAD src0_sel:DWORD src1_sel:WORD_1
	v_mul_f16_sdwa v52, v30, v13 dst_sel:DWORD dst_unused:UNUSED_PAD src0_sel:DWORD src1_sel:WORD_1
	;; [unrolled: 1-line block ×3, first 2 shown]
	v_fmac_f16_e32 v36, v5, v21
	v_fma_f16 v5, v5, v31, -v37
	v_fmac_f16_e32 v44, v15, v9
	v_fmac_f16_e32 v50, v18, v12
	v_fma_f16 v12, v28, v12, -v51
	v_add_f16_sdwa v15, v4, v3 dst_sel:DWORD dst_unused:UNUSED_PAD src0_sel:DWORD src1_sel:WORD_1
	v_mul_f16_sdwa v40, v7, v33 dst_sel:DWORD dst_unused:UNUSED_PAD src0_sel:WORD_1 src1_sel:DWORD
	v_mul_f16_sdwa v41, v7, v23 dst_sel:DWORD dst_unused:UNUSED_PAD src0_sel:WORD_1 src1_sel:DWORD
	v_mul_f16_sdwa v48, v27, v11 dst_sel:DWORD dst_unused:UNUSED_PAD src0_sel:DWORD src1_sel:WORD_1
	v_fmac_f16_e32 v38, v6, v22
	v_fma_f16 v6, v6, v32, -v39
	v_fmac_f16_e32 v52, v19, v13
	v_fma_f16 v13, v30, v13, -v53
	v_add_f16_e32 v20, v5, v12
	v_sub_f16_e32 v22, v5, v12
	v_add_f16_e32 v5, v15, v5
	v_mul_f16_sdwa v42, v24, v8 dst_sel:DWORD dst_unused:UNUSED_PAD src0_sel:DWORD src1_sel:WORD_1
	v_mul_f16_sdwa v43, v8, v14 dst_sel:DWORD dst_unused:UNUSED_PAD src0_sel:WORD_1 src1_sel:DWORD
	v_mul_f16_sdwa v46, v26, v10 dst_sel:DWORD dst_unused:UNUSED_PAD src0_sel:DWORD src1_sel:WORD_1
	v_mul_f16_sdwa v49, v17, v11 dst_sel:DWORD dst_unused:UNUSED_PAD src0_sel:DWORD src1_sel:WORD_1
	v_fmac_f16_e32 v40, v7, v23
	v_fma_f16 v7, v7, v33, -v41
	v_fmac_f16_e32 v48, v17, v11
	v_add_f16_e32 v17, v4, v13
	v_sub_f16_e32 v4, v4, v13
	v_add_f16_e32 v5, v5, v6
	v_mul_f16_sdwa v47, v16, v10 dst_sel:DWORD dst_unused:UNUSED_PAD src0_sel:DWORD src1_sel:WORD_1
	v_fmac_f16_e32 v42, v8, v14
	v_fma_f16 v8, v24, v8, -v43
	v_fmac_f16_e32 v46, v16, v10
	v_add_f16_e32 v14, v34, v3
	v_add_f16_e32 v16, v34, v52
	v_mul_f16_e32 v15, 0xb853, v4
	v_add_f16_e32 v5, v5, v7
	v_fma_f16 v9, v25, v9, -v45
	v_fma_f16 v10, v26, v10, -v47
	;; [unrolled: 1-line block ×3, first 2 shown]
	v_sub_f16_e32 v18, v34, v52
	v_add_f16_e32 v19, v36, v50
	v_sub_f16_e32 v21, v36, v50
	v_add_f16_e32 v14, v14, v36
	v_mul_f16_e32 v23, 0x3abb, v17
	v_mul_f16_e32 v24, 0xbb47, v4
	v_mul_f16_e32 v25, 0x36a6, v17
	v_mul_f16_e32 v26, 0xbbeb, v4
	v_mul_f16_e32 v27, 0xb08e, v17
	v_mul_f16_e32 v28, 0xba0c, v4
	v_mul_f16_e32 v29, 0xb93d, v17
	v_mul_f16_e32 v4, 0xb482, v4
	v_mul_f16_e32 v17, 0xbbad, v17
	v_mul_f16_e32 v30, 0xbb47, v22
	v_mul_f16_e32 v31, 0x36a6, v20
	v_mul_f16_e32 v32, 0xba0c, v22
	v_mul_f16_e32 v33, 0xb93d, v20
	v_mul_f16_e32 v34, 0x3482, v22
	v_mul_f16_e32 v35, 0xbbad, v20
	v_mul_f16_e32 v36, 0x3beb, v22
	v_mul_f16_e32 v37, 0xb08e, v20
	v_mul_f16_e32 v22, 0x3853, v22
	v_mul_f16_e32 v20, 0x3abb, v20
	v_fmamk_f16 v39, v16, 0x3abb, v15
	v_add_f16_e32 v5, v5, v8
	v_fmamk_f16 v41, v18, 0x3853, v23
	v_fma_f16 v15, v16, 0x3abb, -v15
	v_fmac_f16_e32 v23, 0xb853, v18
	v_fmamk_f16 v43, v16, 0x36a6, v24
	v_fmamk_f16 v45, v18, 0x3b47, v25
	v_fma_f16 v24, v16, 0x36a6, -v24
	v_fmac_f16_e32 v25, 0xbb47, v18
	v_fmamk_f16 v47, v16, 0xb08e, v26
	;; [unrolled: 4-line block ×6, first 2 shown]
	v_fma_f16 v32, v19, 0xb93d, -v32
	v_fmamk_f16 v57, v19, 0xbbad, v34
	v_fma_f16 v34, v19, 0xbbad, -v34
	v_fmamk_f16 v58, v19, 0xb08e, v36
	v_fma_f16 v36, v19, 0xb08e, -v36
	v_fmamk_f16 v59, v19, 0x3abb, v22
	v_fma_f16 v19, v19, 0x3abb, -v22
	v_fmamk_f16 v22, v21, 0x3a0c, v33
	v_fmac_f16_e32 v33, 0xba0c, v21
	v_fmamk_f16 v60, v21, 0xb482, v35
	v_fmac_f16_e32 v35, 0x3482, v21
	v_fmamk_f16 v61, v21, 0xbbeb, v37
	;; [unrolled: 2-line block ×3, first 2 shown]
	v_fmac_f16_e32 v20, 0x3853, v21
	v_add_f16_e32 v21, v39, v3
	v_add_f16_e32 v5, v5, v9
	v_add_f16_sdwa v39, v41, v3 dst_sel:DWORD dst_unused:UNUSED_PAD src0_sel:DWORD src1_sel:WORD_1
	v_add_f16_sdwa v23, v23, v3 dst_sel:DWORD dst_unused:UNUSED_PAD src0_sel:DWORD src1_sel:WORD_1
	v_add_f16_e32 v14, v14, v38
	v_add_f16_e32 v16, v16, v21
	v_add_f16_e32 v21, v6, v11
	v_sub_f16_e32 v6, v6, v11
	v_add_f16_e32 v5, v5, v10
	v_add_f16_e32 v15, v15, v3
	;; [unrolled: 1-line block ×3, first 2 shown]
	v_add_f16_sdwa v43, v45, v3 dst_sel:DWORD dst_unused:UNUSED_PAD src0_sel:DWORD src1_sel:WORD_1
	v_add_f16_e32 v24, v24, v3
	v_add_f16_sdwa v25, v25, v3 dst_sel:DWORD dst_unused:UNUSED_PAD src0_sel:DWORD src1_sel:WORD_1
	v_add_f16_e32 v45, v47, v3
	;; [unrolled: 2-line block ×8, first 2 shown]
	v_add_f16_e32 v17, v18, v39
	v_add_f16_e32 v18, v38, v48
	;; [unrolled: 1-line block ×3, first 2 shown]
	v_mul_f16_e32 v31, 0xbbeb, v6
	v_add_f16_e32 v5, v5, v11
	v_add_f16_e32 v15, v30, v15
	;; [unrolled: 1-line block ×3, first 2 shown]
	v_sub_f16_e32 v30, v38, v48
	v_add_f16_e32 v38, v56, v41
	v_mul_f16_e32 v39, 0xb08e, v21
	v_fmamk_f16 v41, v18, 0xb08e, v31
	v_add_f16_e32 v5, v5, v12
	v_add_f16_e32 v12, v34, v26
	v_fma_f16 v31, v18, 0xb08e, -v31
	v_mul_f16_e32 v34, 0xbbad, v21
	v_add_f16_e32 v14, v14, v44
	v_add_f16_e32 v22, v22, v43
	;; [unrolled: 1-line block ×5, first 2 shown]
	v_fmamk_f16 v19, v30, 0x3beb, v39
	v_mul_f16_e32 v20, 0x3482, v6
	v_add_f16_e32 v15, v31, v15
	v_fmamk_f16 v31, v30, 0xb482, v34
	v_mul_f16_e32 v35, 0x3b47, v6
	v_add_f16_e32 v14, v14, v46
	v_add_f16_e32 v24, v32, v24
	;; [unrolled: 1-line block ×6, first 2 shown]
	v_fmamk_f16 v19, v18, 0xbbad, v20
	v_fma_f16 v20, v18, 0xbbad, -v20
	v_add_f16_e32 v22, v31, v22
	v_fmamk_f16 v31, v18, 0x36a6, v35
	v_mul_f16_e32 v36, 0x36a6, v21
	v_add_f16_e32 v14, v14, v48
	v_add_f16_e32 v32, v60, v47
	;; [unrolled: 1-line block ×3, first 2 shown]
	v_fmac_f16_e32 v34, 0x3482, v30
	v_add_f16_e32 v20, v20, v24
	v_mul_f16_e32 v24, 0xb853, v6
	v_add_f16_e32 v25, v31, v25
	v_fmamk_f16 v31, v30, 0xbb47, v36
	v_mul_f16_e32 v37, 0x3abb, v21
	v_add_f16_e32 v14, v14, v50
	v_add_f16_sdwa v5, v5, v13 dst_sel:WORD_1 dst_unused:UNUSED_PAD src0_sel:DWORD src1_sel:DWORD
	v_add_f16_e32 v13, v61, v51
	v_add_f16_e32 v11, v34, v11
	v_fma_f16 v34, v18, 0x36a6, -v35
	v_fmamk_f16 v35, v18, 0x3abb, v24
	v_add_f16_e32 v31, v31, v32
	v_fmamk_f16 v32, v30, 0x3853, v37
	v_mul_f16_e32 v6, 0xba0c, v6
	v_fma_f16 v24, v18, 0x3abb, -v24
	v_fmac_f16_e32 v37, 0xb853, v30
	v_add_f16_e32 v14, v14, v52
	v_add_f16_e32 v33, v59, v53
	v_mul_f16_e32 v21, 0xb93d, v21
	v_add_f16_e32 v13, v32, v13
	v_fmamk_f16 v32, v18, 0xb93d, v6
	v_add_f16_e32 v24, v24, v28
	v_add_f16_e32 v28, v37, v29
	v_sub_f16_e32 v29, v7, v10
	v_add_f16_e32 v7, v7, v10
	v_or_b32_sdwa v5, v5, v14 dst_sel:DWORD dst_unused:UNUSED_PAD src0_sel:DWORD src1_sel:WORD_0
	v_add_f16_e32 v14, v62, v54
	v_fmac_f16_e32 v39, 0xbbeb, v30
	v_fmac_f16_e32 v36, 0x3b47, v30
	v_add_f16_e32 v12, v34, v12
	v_fmamk_f16 v34, v30, 0x3a0c, v21
	v_add_f16_e32 v32, v32, v33
	v_add_f16_e32 v33, v40, v46
	v_mul_f16_e32 v10, 0xba0c, v29
	v_fma_f16 v6, v18, 0xb93d, -v6
	v_fmac_f16_e32 v21, 0xba0c, v30
	v_sub_f16_e32 v18, v40, v46
	v_mul_f16_e32 v30, 0xb93d, v7
	v_add_f16_e32 v16, v41, v16
	v_add_f16_e32 v23, v39, v23
	;; [unrolled: 1-line block ×3, first 2 shown]
	v_fmamk_f16 v34, v33, 0xb93d, v10
	v_add_f16_e32 v4, v6, v4
	v_add_f16_e32 v3, v21, v3
	v_mul_f16_e32 v6, 0x3beb, v29
	v_fmamk_f16 v21, v18, 0x3a0c, v30
	v_fma_f16 v10, v33, 0xb93d, -v10
	v_fmac_f16_e32 v30, 0xba0c, v18
	v_add_f16_e32 v27, v58, v49
	v_add_f16_e32 v19, v19, v38
	;; [unrolled: 1-line block ×3, first 2 shown]
	v_fmamk_f16 v34, v33, 0xb08e, v6
	v_add_f16_e32 v17, v21, v17
	v_mul_f16_e32 v21, 0xb08e, v7
	v_add_f16_e32 v10, v10, v15
	v_add_f16_e32 v15, v30, v23
	v_mul_f16_e32 v23, 0xb853, v29
	v_add_f16_e32 v27, v35, v27
	v_add_f16_e32 v19, v34, v19
	v_fmamk_f16 v30, v18, 0xbbeb, v21
	v_fma_f16 v6, v33, 0xb08e, -v6
	v_fmac_f16_e32 v21, 0x3beb, v18
	v_mul_f16_e32 v34, 0x3abb, v7
	v_fmamk_f16 v35, v33, 0x3abb, v23
	v_add_f16_e32 v26, v36, v26
	v_add_f16_e32 v22, v30, v22
	v_add_f16_e32 v6, v6, v20
	v_add_f16_e32 v11, v21, v11
	v_fmamk_f16 v20, v18, 0x3853, v34
	v_add_f16_e32 v21, v35, v25
	v_mul_f16_e32 v25, 0xb482, v29
	v_fma_f16 v23, v33, 0x3abb, -v23
	v_fmac_f16_e32 v34, 0xb853, v18
	v_mul_f16_e32 v30, 0xbbad, v7
	v_add_f16_e32 v20, v20, v31
	v_fmamk_f16 v31, v33, 0xbbad, v25
	v_add_f16_e32 v12, v23, v12
	v_add_f16_e32 v23, v34, v26
	v_mul_f16_e32 v26, 0x3b47, v29
	v_fmamk_f16 v29, v18, 0x3482, v30
	v_add_f16_e32 v27, v31, v27
	v_fma_f16 v25, v33, 0xbbad, -v25
	v_fmac_f16_e32 v30, 0xb482, v18
	v_fmamk_f16 v31, v33, 0x36a6, v26
	v_add_f16_e32 v13, v29, v13
	v_mul_f16_e32 v7, 0x36a6, v7
	v_sub_f16_e32 v29, v8, v9
	v_add_f16_e32 v8, v8, v9
	v_add_f16_e32 v24, v25, v24
	;; [unrolled: 1-line block ×4, first 2 shown]
	v_fmamk_f16 v30, v18, 0xbb47, v7
	v_fma_f16 v26, v33, 0x36a6, -v26
	v_add_f16_e32 v9, v42, v44
	v_mul_f16_e32 v31, 0xb482, v29
	v_fmac_f16_e32 v7, 0x3b47, v18
	v_sub_f16_e32 v18, v42, v44
	v_mul_f16_e32 v32, 0xbbad, v8
	v_add_f16_e32 v14, v30, v14
	v_fmamk_f16 v30, v9, 0xbbad, v31
	v_add_f16_e32 v4, v26, v4
	v_add_f16_e32 v3, v7, v3
	v_fmamk_f16 v7, v18, 0x3482, v32
	v_mul_f16_e32 v26, 0x3853, v29
	v_add_f16_e32 v16, v30, v16
	v_fma_f16 v30, v9, 0xbbad, -v31
	v_mul_f16_e32 v31, 0x3abb, v8
	v_add_f16_e32 v7, v7, v17
	v_fmamk_f16 v17, v9, 0x3abb, v26
	v_fma_f16 v26, v9, 0x3abb, -v26
	v_mul_f16_e32 v33, 0xb93d, v8
	v_fmac_f16_e32 v32, 0xb482, v18
	v_add_f16_e32 v10, v30, v10
	v_add_f16_e32 v17, v17, v19
	v_fmamk_f16 v19, v18, 0xb853, v31
	v_add_f16_e32 v6, v26, v6
	v_mul_f16_e32 v26, 0x3b47, v29
	v_mul_f16_e32 v30, 0xba0c, v29
	v_fmac_f16_e32 v31, 0x3853, v18
	v_add_f16_e32 v19, v19, v22
	v_fmamk_f16 v22, v18, 0x3a0c, v33
	v_add_f16_e32 v15, v32, v15
	v_fmamk_f16 v32, v9, 0xb93d, v30
	v_add_f16_e32 v11, v31, v11
	v_mul_f16_e32 v31, 0x36a6, v8
	v_add_f16_e32 v20, v22, v20
	v_fmamk_f16 v22, v9, 0x36a6, v26
	v_fma_f16 v26, v9, 0x36a6, -v26
	v_mul_f16_e32 v8, 0xb08e, v8
	v_add_f16_e32 v21, v32, v21
	v_fma_f16 v30, v9, 0xb93d, -v30
	v_add_f16_e32 v22, v22, v27
	v_mul_f16_e32 v27, 0xbbeb, v29
	v_add_f16_e32 v24, v26, v24
	v_fmamk_f16 v29, v18, 0x3beb, v8
	v_fmac_f16_e32 v8, 0xbbeb, v18
	v_pack_b32_f16 v7, v16, v7
	v_fmamk_f16 v26, v9, 0xb08e, v27
	v_fma_f16 v9, v9, 0xb08e, -v27
	v_fmac_f16_e32 v33, 0xba0c, v18
	v_add_f16_e32 v3, v8, v3
	v_pack_b32_f16 v8, v17, v19
	v_add_f16_e32 v12, v30, v12
	v_add_f16_e32 v4, v9, v4
	v_pack_b32_f16 v9, v21, v20
	v_fmamk_f16 v30, v18, 0xbb47, v31
	v_fmac_f16_e32 v31, 0x3b47, v18
	ds_write2_b32 v2, v5, v7 offset1:11
	ds_write2_b32 v2, v8, v9 offset0:22 offset1:33
	v_add_nc_u32_e32 v9, s19, v0
	v_add_f16_e32 v23, v33, v23
	v_add_f16_e32 v13, v30, v13
	;; [unrolled: 1-line block ×5, first 2 shown]
	v_cmp_gt_u32_e32 vcc_lo, s33, v9
	v_pack_b32_f16 v5, v22, v13
	v_pack_b32_f16 v8, v12, v23
	;; [unrolled: 1-line block ×7, first 2 shown]
	s_or_b32 s0, s12, vcc_lo
	ds_write2_b32 v2, v5, v7 offset0:44 offset1:55
	ds_write2_b32 v2, v3, v4 offset0:66 offset1:77
	ds_write2_b32 v2, v8, v6 offset0:88 offset1:99
	ds_write_b32 v2, v10 offset:440
	s_waitcnt lgkmcnt(0)
	s_barrier
	buffer_gl0_inv
	s_and_saveexec_b32 s1, s0
	s_cbranch_execz .LBB0_17
; %bb.16:
	v_mad_u64_u32 v[2:3], null, s16, v0, 0
	v_mul_lo_u32 v4, s18, v1
	v_mul_u32_u24_e32 v6, 0x1e4, v0
	v_lshlrev_b32_e32 v7, 2, v1
	s_mul_i32 s1, s7, s23
	s_mul_hi_u32 s7, s6, s23
	v_mov_b32_e32 v5, 0
	s_mul_i32 s0, s6, s23
	s_add_i32 s1, s7, s1
	v_mad_u64_u32 v[0:1], null, s17, v0, v[3:4]
	v_add3_u32 v14, 0, v6, v7
	s_mul_i32 s6, s18, 11
	s_lshl_b64 s[0:1], s[0:1], 2
	ds_read2_b32 v[6:7], v14 offset1:11
	ds_read2_b32 v[8:9], v14 offset0:22 offset1:33
	v_mov_b32_e32 v3, v0
	s_add_u32 s2, s2, s0
	v_lshlrev_b64 v[0:1], 2, v[4:5]
	v_add_nc_u32_e32 v4, s6, v4
	s_addc_u32 s3, s3, s1
	v_lshlrev_b64 v[2:3], 2, v[2:3]
	s_lshl_b64 s[0:1], s[4:5], 2
	s_add_u32 s0, s2, s0
	s_addc_u32 s1, s3, s1
	v_lshlrev_b64 v[10:11], 2, v[4:5]
	v_add_nc_u32_e32 v4, s6, v4
	v_add_co_u32 v15, vcc_lo, s0, v2
	v_add_co_ci_u32_e32 v16, vcc_lo, s1, v3, vcc_lo
	v_lshlrev_b64 v[2:3], 2, v[4:5]
	v_add_co_u32 v0, vcc_lo, v15, v0
	v_add_co_ci_u32_e32 v1, vcc_lo, v16, v1, vcc_lo
	v_add_co_u32 v10, vcc_lo, v15, v10
	v_add_co_ci_u32_e32 v11, vcc_lo, v16, v11, vcc_lo
	v_add_nc_u32_e32 v4, s6, v4
	v_add_co_u32 v2, vcc_lo, v15, v2
	v_add_co_ci_u32_e32 v3, vcc_lo, v16, v3, vcc_lo
	v_lshlrev_b64 v[12:13], 2, v[4:5]
	v_add_nc_u32_e32 v4, s6, v4
	s_waitcnt lgkmcnt(1)
	global_store_dword v[0:1], v6, off
	global_store_dword v[10:11], v7, off
	s_waitcnt lgkmcnt(0)
	global_store_dword v[2:3], v8, off
	ds_read2_b32 v[0:1], v14 offset0:44 offset1:55
	v_lshlrev_b64 v[2:3], 2, v[4:5]
	v_add_nc_u32_e32 v4, s6, v4
	v_add_co_u32 v6, vcc_lo, v15, v12
	v_add_co_ci_u32_e32 v7, vcc_lo, v16, v13, vcc_lo
	v_lshlrev_b64 v[10:11], 2, v[4:5]
	v_add_nc_u32_e32 v4, s6, v4
	v_add_co_u32 v2, vcc_lo, v15, v2
	v_add_co_ci_u32_e32 v3, vcc_lo, v16, v3, vcc_lo
	v_add_co_u32 v10, vcc_lo, v15, v10
	v_lshlrev_b64 v[12:13], 2, v[4:5]
	v_add_nc_u32_e32 v4, s6, v4
	v_add_co_ci_u32_e32 v11, vcc_lo, v16, v11, vcc_lo
	global_store_dword v[6:7], v9, off
	s_waitcnt lgkmcnt(0)
	global_store_dword v[2:3], v0, off
	global_store_dword v[10:11], v1, off
	v_lshlrev_b64 v[2:3], 2, v[4:5]
	v_add_nc_u32_e32 v4, s6, v4
	ds_read2_b32 v[0:1], v14 offset0:66 offset1:77
	ds_read2_b32 v[8:9], v14 offset0:88 offset1:99
	v_add_co_u32 v6, vcc_lo, v15, v12
	v_lshlrev_b64 v[10:11], 2, v[4:5]
	v_add_nc_u32_e32 v4, s6, v4
	ds_read_b32 v14, v14 offset:440
	v_add_co_ci_u32_e32 v7, vcc_lo, v16, v13, vcc_lo
	v_add_co_u32 v2, vcc_lo, v15, v2
	v_lshlrev_b64 v[12:13], 2, v[4:5]
	v_add_nc_u32_e32 v4, s6, v4
	v_add_co_ci_u32_e32 v3, vcc_lo, v16, v3, vcc_lo
	v_add_co_u32 v10, vcc_lo, v15, v10
	v_lshlrev_b64 v[4:5], 2, v[4:5]
	v_add_co_ci_u32_e32 v11, vcc_lo, v16, v11, vcc_lo
	v_add_co_u32 v12, vcc_lo, v15, v12
	v_add_co_ci_u32_e32 v13, vcc_lo, v16, v13, vcc_lo
	v_add_co_u32 v4, vcc_lo, v15, v4
	v_add_co_ci_u32_e32 v5, vcc_lo, v16, v5, vcc_lo
	s_waitcnt lgkmcnt(2)
	global_store_dword v[6:7], v0, off
	global_store_dword v[2:3], v1, off
	s_waitcnt lgkmcnt(1)
	global_store_dword v[10:11], v8, off
	global_store_dword v[12:13], v9, off
	s_waitcnt lgkmcnt(0)
	global_store_dword v[4:5], v14, off
.LBB0_17:
	s_endpgm
	.section	.rodata,"a",@progbits
	.p2align	6, 0x0
	.amdhsa_kernel fft_rtc_back_len121_factors_11_11_wgs_121_tpt_11_half_op_CI_CI_sbrc_unaligned
		.amdhsa_group_segment_fixed_size 0
		.amdhsa_private_segment_fixed_size 0
		.amdhsa_kernarg_size 104
		.amdhsa_user_sgpr_count 6
		.amdhsa_user_sgpr_private_segment_buffer 1
		.amdhsa_user_sgpr_dispatch_ptr 0
		.amdhsa_user_sgpr_queue_ptr 0
		.amdhsa_user_sgpr_kernarg_segment_ptr 1
		.amdhsa_user_sgpr_dispatch_id 0
		.amdhsa_user_sgpr_flat_scratch_init 0
		.amdhsa_user_sgpr_private_segment_size 0
		.amdhsa_wavefront_size32 1
		.amdhsa_uses_dynamic_stack 0
		.amdhsa_system_sgpr_private_segment_wavefront_offset 0
		.amdhsa_system_sgpr_workgroup_id_x 1
		.amdhsa_system_sgpr_workgroup_id_y 0
		.amdhsa_system_sgpr_workgroup_id_z 0
		.amdhsa_system_sgpr_workgroup_info 0
		.amdhsa_system_vgpr_workitem_id 0
		.amdhsa_next_free_vgpr 63
		.amdhsa_next_free_sgpr 46
		.amdhsa_reserve_vcc 1
		.amdhsa_reserve_flat_scratch 0
		.amdhsa_float_round_mode_32 0
		.amdhsa_float_round_mode_16_64 0
		.amdhsa_float_denorm_mode_32 3
		.amdhsa_float_denorm_mode_16_64 3
		.amdhsa_dx10_clamp 1
		.amdhsa_ieee_mode 1
		.amdhsa_fp16_overflow 0
		.amdhsa_workgroup_processor_mode 1
		.amdhsa_memory_ordered 1
		.amdhsa_forward_progress 0
		.amdhsa_shared_vgpr_count 0
		.amdhsa_exception_fp_ieee_invalid_op 0
		.amdhsa_exception_fp_denorm_src 0
		.amdhsa_exception_fp_ieee_div_zero 0
		.amdhsa_exception_fp_ieee_overflow 0
		.amdhsa_exception_fp_ieee_underflow 0
		.amdhsa_exception_fp_ieee_inexact 0
		.amdhsa_exception_int_div_zero 0
	.end_amdhsa_kernel
	.text
.Lfunc_end0:
	.size	fft_rtc_back_len121_factors_11_11_wgs_121_tpt_11_half_op_CI_CI_sbrc_unaligned, .Lfunc_end0-fft_rtc_back_len121_factors_11_11_wgs_121_tpt_11_half_op_CI_CI_sbrc_unaligned
                                        ; -- End function
	.section	.AMDGPU.csdata,"",@progbits
; Kernel info:
; codeLenInByte = 7412
; NumSgprs: 48
; NumVgprs: 63
; ScratchSize: 0
; MemoryBound: 0
; FloatMode: 240
; IeeeMode: 1
; LDSByteSize: 0 bytes/workgroup (compile time only)
; SGPRBlocks: 5
; VGPRBlocks: 7
; NumSGPRsForWavesPerEU: 48
; NumVGPRsForWavesPerEU: 63
; Occupancy: 16
; WaveLimiterHint : 1
; COMPUTE_PGM_RSRC2:SCRATCH_EN: 0
; COMPUTE_PGM_RSRC2:USER_SGPR: 6
; COMPUTE_PGM_RSRC2:TRAP_HANDLER: 0
; COMPUTE_PGM_RSRC2:TGID_X_EN: 1
; COMPUTE_PGM_RSRC2:TGID_Y_EN: 0
; COMPUTE_PGM_RSRC2:TGID_Z_EN: 0
; COMPUTE_PGM_RSRC2:TIDIG_COMP_CNT: 0
	.text
	.p2alignl 6, 3214868480
	.fill 48, 4, 3214868480
	.type	__hip_cuid_acbb4446da19573a,@object ; @__hip_cuid_acbb4446da19573a
	.section	.bss,"aw",@nobits
	.globl	__hip_cuid_acbb4446da19573a
__hip_cuid_acbb4446da19573a:
	.byte	0                               ; 0x0
	.size	__hip_cuid_acbb4446da19573a, 1

	.ident	"AMD clang version 19.0.0git (https://github.com/RadeonOpenCompute/llvm-project roc-6.4.0 25133 c7fe45cf4b819c5991fe208aaa96edf142730f1d)"
	.section	".note.GNU-stack","",@progbits
	.addrsig
	.addrsig_sym __hip_cuid_acbb4446da19573a
	.amdgpu_metadata
---
amdhsa.kernels:
  - .args:
      - .actual_access:  read_only
        .address_space:  global
        .offset:         0
        .size:           8
        .value_kind:     global_buffer
      - .offset:         8
        .size:           8
        .value_kind:     by_value
      - .actual_access:  read_only
        .address_space:  global
        .offset:         16
        .size:           8
        .value_kind:     global_buffer
      - .actual_access:  read_only
        .address_space:  global
        .offset:         24
        .size:           8
        .value_kind:     global_buffer
      - .actual_access:  read_only
        .address_space:  global
        .offset:         32
        .size:           8
        .value_kind:     global_buffer
      - .offset:         40
        .size:           8
        .value_kind:     by_value
      - .actual_access:  read_only
        .address_space:  global
        .offset:         48
        .size:           8
        .value_kind:     global_buffer
      - .actual_access:  read_only
        .address_space:  global
        .offset:         56
        .size:           8
        .value_kind:     global_buffer
      - .offset:         64
        .size:           4
        .value_kind:     by_value
      - .actual_access:  read_only
        .address_space:  global
        .offset:         72
        .size:           8
        .value_kind:     global_buffer
      - .actual_access:  read_only
        .address_space:  global
        .offset:         80
        .size:           8
        .value_kind:     global_buffer
      - .actual_access:  read_only
        .address_space:  global
        .offset:         88
        .size:           8
        .value_kind:     global_buffer
      - .actual_access:  write_only
        .address_space:  global
        .offset:         96
        .size:           8
        .value_kind:     global_buffer
    .group_segment_fixed_size: 0
    .kernarg_segment_align: 8
    .kernarg_segment_size: 104
    .language:       OpenCL C
    .language_version:
      - 2
      - 0
    .max_flat_workgroup_size: 121
    .name:           fft_rtc_back_len121_factors_11_11_wgs_121_tpt_11_half_op_CI_CI_sbrc_unaligned
    .private_segment_fixed_size: 0
    .sgpr_count:     48
    .sgpr_spill_count: 0
    .symbol:         fft_rtc_back_len121_factors_11_11_wgs_121_tpt_11_half_op_CI_CI_sbrc_unaligned.kd
    .uniform_work_group_size: 1
    .uses_dynamic_stack: false
    .vgpr_count:     63
    .vgpr_spill_count: 0
    .wavefront_size: 32
    .workgroup_processor_mode: 1
amdhsa.target:   amdgcn-amd-amdhsa--gfx1030
amdhsa.version:
  - 1
  - 2
...

	.end_amdgpu_metadata
